;; amdgpu-corpus repo=zjin-lcf/HeCBench kind=compiled arch=gfx1100 opt=O3
	.text
	.amdgcn_target "amdgcn-amd-amdhsa--gfx1100"
	.amdhsa_code_object_version 6
	.section	.text._Z9AoSKernelILi4096EEvPK9AppleTreePi,"axG",@progbits,_Z9AoSKernelILi4096EEvPK9AppleTreePi,comdat
	.protected	_Z9AoSKernelILi4096EEvPK9AppleTreePi ; -- Begin function _Z9AoSKernelILi4096EEvPK9AppleTreePi
	.globl	_Z9AoSKernelILi4096EEvPK9AppleTreePi
	.p2align	8
	.type	_Z9AoSKernelILi4096EEvPK9AppleTreePi,@function
_Z9AoSKernelILi4096EEvPK9AppleTreePi:   ; @_Z9AoSKernelILi4096EEvPK9AppleTreePi
; %bb.0:
	s_clause 0x1
	s_load_b32 s4, s[0:1], 0x1c
	s_load_b128 s[0:3], s[0:1], 0x0
	s_waitcnt lgkmcnt(0)
	s_and_b32 s4, s4, 0xffff
	s_delay_alu instid0(SALU_CYCLE_1) | instskip(SKIP_1) | instid1(VALU_DEP_1)
	v_mad_u64_u32 v[1:2], null, s15, s4, v[0:1]
	v_mov_b32_e32 v2, 0
	v_lshlrev_b64 v[3:4], 14, v[1:2]
	s_delay_alu instid0(VALU_DEP_1) | instskip(NEXT) | instid1(VALU_DEP_2)
	v_add_co_u32 v0, vcc_lo, s0, v3
	v_add_co_ci_u32_e32 v3, vcc_lo, s1, v4, vcc_lo
	v_mov_b32_e32 v4, v2
	s_mov_b64 s[0:1], 0
	.p2align	6
.LBB0_1:                                ; =>This Inner Loop Header: Depth=1
	s_delay_alu instid0(VALU_DEP_3) | instid1(SALU_CYCLE_1)
	v_add_co_u32 v17, vcc_lo, v0, s0
	s_delay_alu instid0(VALU_DEP_3)
	v_add_co_ci_u32_e32 v18, vcc_lo, s1, v3, vcc_lo
	s_add_u32 s0, s0, 64
	s_addc_u32 s1, s1, 0
	s_cmpk_eq_i32 s0, 0x4000
	s_clause 0x3
	global_load_b128 v[5:8], v[17:18], off
	global_load_b128 v[9:12], v[17:18], off offset:16
	global_load_b128 v[13:16], v[17:18], off offset:32
	;; [unrolled: 1-line block ×3, first 2 shown]
	s_waitcnt vmcnt(3)
	v_add3_u32 v4, v5, v4, v6
	s_delay_alu instid0(VALU_DEP_1) | instskip(SKIP_1) | instid1(VALU_DEP_1)
	v_add3_u32 v4, v7, v4, v8
	s_waitcnt vmcnt(2)
	v_add3_u32 v4, v9, v4, v10
	s_delay_alu instid0(VALU_DEP_1) | instskip(SKIP_1) | instid1(VALU_DEP_1)
	v_add3_u32 v4, v11, v4, v12
	;; [unrolled: 4-line block ×3, first 2 shown]
	s_waitcnt vmcnt(0)
	v_add3_u32 v4, v17, v4, v18
	s_delay_alu instid0(VALU_DEP_1)
	v_add3_u32 v4, v19, v4, v20
	s_cbranch_scc0 .LBB0_1
; %bb.2:
	v_lshlrev_b64 v[0:1], 2, v[1:2]
	s_delay_alu instid0(VALU_DEP_1) | instskip(NEXT) | instid1(VALU_DEP_2)
	v_add_co_u32 v0, vcc_lo, s2, v0
	v_add_co_ci_u32_e32 v1, vcc_lo, s3, v1, vcc_lo
	global_store_b32 v[0:1], v4, off
	s_nop 0
	s_sendmsg sendmsg(MSG_DEALLOC_VGPRS)
	s_endpgm
	.section	.rodata,"a",@progbits
	.p2align	6, 0x0
	.amdhsa_kernel _Z9AoSKernelILi4096EEvPK9AppleTreePi
		.amdhsa_group_segment_fixed_size 0
		.amdhsa_private_segment_fixed_size 0
		.amdhsa_kernarg_size 272
		.amdhsa_user_sgpr_count 15
		.amdhsa_user_sgpr_dispatch_ptr 0
		.amdhsa_user_sgpr_queue_ptr 0
		.amdhsa_user_sgpr_kernarg_segment_ptr 1
		.amdhsa_user_sgpr_dispatch_id 0
		.amdhsa_user_sgpr_private_segment_size 0
		.amdhsa_wavefront_size32 1
		.amdhsa_uses_dynamic_stack 0
		.amdhsa_enable_private_segment 0
		.amdhsa_system_sgpr_workgroup_id_x 1
		.amdhsa_system_sgpr_workgroup_id_y 0
		.amdhsa_system_sgpr_workgroup_id_z 0
		.amdhsa_system_sgpr_workgroup_info 0
		.amdhsa_system_vgpr_workitem_id 0
		.amdhsa_next_free_vgpr 21
		.amdhsa_next_free_sgpr 16
		.amdhsa_reserve_vcc 1
		.amdhsa_float_round_mode_32 0
		.amdhsa_float_round_mode_16_64 0
		.amdhsa_float_denorm_mode_32 3
		.amdhsa_float_denorm_mode_16_64 3
		.amdhsa_dx10_clamp 1
		.amdhsa_ieee_mode 1
		.amdhsa_fp16_overflow 0
		.amdhsa_workgroup_processor_mode 1
		.amdhsa_memory_ordered 1
		.amdhsa_forward_progress 0
		.amdhsa_shared_vgpr_count 0
		.amdhsa_exception_fp_ieee_invalid_op 0
		.amdhsa_exception_fp_denorm_src 0
		.amdhsa_exception_fp_ieee_div_zero 0
		.amdhsa_exception_fp_ieee_overflow 0
		.amdhsa_exception_fp_ieee_underflow 0
		.amdhsa_exception_fp_ieee_inexact 0
		.amdhsa_exception_int_div_zero 0
	.end_amdhsa_kernel
	.section	.text._Z9AoSKernelILi4096EEvPK9AppleTreePi,"axG",@progbits,_Z9AoSKernelILi4096EEvPK9AppleTreePi,comdat
.Lfunc_end0:
	.size	_Z9AoSKernelILi4096EEvPK9AppleTreePi, .Lfunc_end0-_Z9AoSKernelILi4096EEvPK9AppleTreePi
                                        ; -- End function
	.section	.AMDGPU.csdata,"",@progbits
; Kernel info:
; codeLenInByte = 292
; NumSgprs: 18
; NumVgprs: 21
; ScratchSize: 0
; MemoryBound: 0
; FloatMode: 240
; IeeeMode: 1
; LDSByteSize: 0 bytes/workgroup (compile time only)
; SGPRBlocks: 2
; VGPRBlocks: 2
; NumSGPRsForWavesPerEU: 18
; NumVGPRsForWavesPerEU: 21
; Occupancy: 16
; WaveLimiterHint : 0
; COMPUTE_PGM_RSRC2:SCRATCH_EN: 0
; COMPUTE_PGM_RSRC2:USER_SGPR: 15
; COMPUTE_PGM_RSRC2:TRAP_HANDLER: 0
; COMPUTE_PGM_RSRC2:TGID_X_EN: 1
; COMPUTE_PGM_RSRC2:TGID_Y_EN: 0
; COMPUTE_PGM_RSRC2:TGID_Z_EN: 0
; COMPUTE_PGM_RSRC2:TIDIG_COMP_CNT: 0
	.section	.text._Z9SoAKernelILi4096EEvPK13ApplesOnTreesPi,"axG",@progbits,_Z9SoAKernelILi4096EEvPK13ApplesOnTreesPi,comdat
	.protected	_Z9SoAKernelILi4096EEvPK13ApplesOnTreesPi ; -- Begin function _Z9SoAKernelILi4096EEvPK13ApplesOnTreesPi
	.globl	_Z9SoAKernelILi4096EEvPK13ApplesOnTreesPi
	.p2align	8
	.type	_Z9SoAKernelILi4096EEvPK13ApplesOnTreesPi,@function
_Z9SoAKernelILi4096EEvPK13ApplesOnTreesPi: ; @_Z9SoAKernelILi4096EEvPK13ApplesOnTreesPi
; %bb.0:
	s_clause 0x1
	s_load_b32 s4, s[0:1], 0x1c
	s_load_b128 s[0:3], s[0:1], 0x0
	s_waitcnt lgkmcnt(0)
	s_and_b32 s4, s4, 0xffff
	s_delay_alu instid0(SALU_CYCLE_1) | instskip(SKIP_1) | instid1(VALU_DEP_1)
	v_mad_u64_u32 v[1:2], null, s15, s4, v[0:1]
	v_mov_b32_e32 v2, 0
	v_lshlrev_b64 v[0:1], 2, v[1:2]
	s_delay_alu instid0(VALU_DEP_1) | instskip(NEXT) | instid1(VALU_DEP_2)
	v_add_co_u32 v3, vcc_lo, s0, v0
	v_add_co_ci_u32_e32 v4, vcc_lo, s1, v1, vcc_lo
	s_mov_b64 s[0:1], 0
.LBB1_1:                                ; =>This Inner Loop Header: Depth=1
	s_delay_alu instid0(VALU_DEP_2) | instid1(SALU_CYCLE_1)
	v_add_co_u32 v5, vcc_lo, v3, s0
	s_delay_alu instid0(VALU_DEP_2) | instskip(SKIP_1) | instid1(VALU_DEP_2)
	v_add_co_ci_u32_e32 v6, vcc_lo, s1, v4, vcc_lo
	s_add_u32 s0, s0, 0x40000
	v_add_co_u32 v7, vcc_lo, 0x4000, v5
	s_delay_alu instid0(VALU_DEP_2)
	v_add_co_ci_u32_e32 v8, vcc_lo, 0, v6, vcc_lo
	v_add_co_u32 v9, vcc_lo, 0x8000, v5
	v_add_co_ci_u32_e32 v10, vcc_lo, 0, v6, vcc_lo
	v_add_co_u32 v11, vcc_lo, 0xc000, v5
	;; [unrolled: 2-line block ×4, first 2 shown]
	v_add_co_ci_u32_e32 v16, vcc_lo, 0, v6, vcc_lo
	s_clause 0x1
	global_load_b32 v29, v[5:6], off
	global_load_b32 v30, v[7:8], off
	v_add_co_u32 v17, vcc_lo, 0x18000, v5
	v_add_co_ci_u32_e32 v18, vcc_lo, 0, v6, vcc_lo
	v_add_co_u32 v19, vcc_lo, 0x1c000, v5
	s_clause 0x1
	global_load_b32 v31, v[9:10], off
	global_load_b32 v32, v[11:12], off
	v_add_co_ci_u32_e32 v20, vcc_lo, 0, v6, vcc_lo
	v_add_co_u32 v21, vcc_lo, 0x20000, v5
	v_add_co_ci_u32_e32 v22, vcc_lo, 0, v6, vcc_lo
	v_add_co_u32 v23, vcc_lo, 0x24000, v5
	s_clause 0x1
	global_load_b32 v13, v[13:14], off
	global_load_b32 v14, v[15:16], off
	v_add_co_ci_u32_e32 v24, vcc_lo, 0, v6, vcc_lo
	v_add_co_u32 v25, vcc_lo, 0x28000, v5
	v_add_co_ci_u32_e32 v26, vcc_lo, 0, v6, vcc_lo
	s_clause 0x1
	global_load_b32 v15, v[17:18], off
	global_load_b32 v16, v[19:20], off
	v_add_co_u32 v27, vcc_lo, 0x2c000, v5
	v_add_co_ci_u32_e32 v28, vcc_lo, 0, v6, vcc_lo
	v_add_co_u32 v7, vcc_lo, 0x30000, v5
	s_clause 0x1
	global_load_b32 v17, v[21:22], off
	global_load_b32 v18, v[23:24], off
	v_add_co_ci_u32_e32 v8, vcc_lo, 0, v6, vcc_lo
	v_add_co_u32 v9, vcc_lo, 0x34000, v5
	v_add_co_ci_u32_e32 v10, vcc_lo, 0, v6, vcc_lo
	v_add_co_u32 v11, vcc_lo, 0x38000, v5
	s_clause 0x1
	global_load_b32 v19, v[25:26], off
	global_load_b32 v20, v[27:28], off
	v_add_co_ci_u32_e32 v12, vcc_lo, 0, v6, vcc_lo
	v_add_co_u32 v5, vcc_lo, 0x3c000, v5
	v_add_co_ci_u32_e32 v6, vcc_lo, 0, v6, vcc_lo
	s_clause 0x3
	global_load_b32 v7, v[7:8], off
	global_load_b32 v8, v[9:10], off
	global_load_b32 v9, v[11:12], off
	global_load_b32 v5, v[5:6], off
	s_addc_u32 s1, s1, 0
	s_cmp_eq_u32 s0, 0x4000000
	s_waitcnt vmcnt(14)
	v_add3_u32 v2, v29, v2, v30
	s_waitcnt vmcnt(12)
	s_delay_alu instid0(VALU_DEP_1) | instskip(SKIP_1) | instid1(VALU_DEP_1)
	v_add3_u32 v2, v31, v2, v32
	s_waitcnt vmcnt(10)
	v_add3_u32 v2, v13, v2, v14
	s_waitcnt vmcnt(8)
	s_delay_alu instid0(VALU_DEP_1) | instskip(SKIP_1) | instid1(VALU_DEP_1)
	v_add3_u32 v2, v15, v2, v16
	;; [unrolled: 5-line block ×3, first 2 shown]
	s_waitcnt vmcnt(2)
	v_add3_u32 v2, v7, v2, v8
	s_waitcnt vmcnt(0)
	s_delay_alu instid0(VALU_DEP_1)
	v_add3_u32 v2, v9, v2, v5
	s_cbranch_scc0 .LBB1_1
; %bb.2:
	v_add_co_u32 v0, vcc_lo, s2, v0
	v_add_co_ci_u32_e32 v1, vcc_lo, s3, v1, vcc_lo
	global_store_b32 v[0:1], v2, off
	s_nop 0
	s_sendmsg sendmsg(MSG_DEALLOC_VGPRS)
	s_endpgm
	.section	.rodata,"a",@progbits
	.p2align	6, 0x0
	.amdhsa_kernel _Z9SoAKernelILi4096EEvPK13ApplesOnTreesPi
		.amdhsa_group_segment_fixed_size 0
		.amdhsa_private_segment_fixed_size 0
		.amdhsa_kernarg_size 272
		.amdhsa_user_sgpr_count 15
		.amdhsa_user_sgpr_dispatch_ptr 0
		.amdhsa_user_sgpr_queue_ptr 0
		.amdhsa_user_sgpr_kernarg_segment_ptr 1
		.amdhsa_user_sgpr_dispatch_id 0
		.amdhsa_user_sgpr_private_segment_size 0
		.amdhsa_wavefront_size32 1
		.amdhsa_uses_dynamic_stack 0
		.amdhsa_enable_private_segment 0
		.amdhsa_system_sgpr_workgroup_id_x 1
		.amdhsa_system_sgpr_workgroup_id_y 0
		.amdhsa_system_sgpr_workgroup_id_z 0
		.amdhsa_system_sgpr_workgroup_info 0
		.amdhsa_system_vgpr_workitem_id 0
		.amdhsa_next_free_vgpr 33
		.amdhsa_next_free_sgpr 16
		.amdhsa_reserve_vcc 1
		.amdhsa_float_round_mode_32 0
		.amdhsa_float_round_mode_16_64 0
		.amdhsa_float_denorm_mode_32 3
		.amdhsa_float_denorm_mode_16_64 3
		.amdhsa_dx10_clamp 1
		.amdhsa_ieee_mode 1
		.amdhsa_fp16_overflow 0
		.amdhsa_workgroup_processor_mode 1
		.amdhsa_memory_ordered 1
		.amdhsa_forward_progress 0
		.amdhsa_shared_vgpr_count 0
		.amdhsa_exception_fp_ieee_invalid_op 0
		.amdhsa_exception_fp_denorm_src 0
		.amdhsa_exception_fp_ieee_div_zero 0
		.amdhsa_exception_fp_ieee_overflow 0
		.amdhsa_exception_fp_ieee_underflow 0
		.amdhsa_exception_fp_ieee_inexact 0
		.amdhsa_exception_int_div_zero 0
	.end_amdhsa_kernel
	.section	.text._Z9SoAKernelILi4096EEvPK13ApplesOnTreesPi,"axG",@progbits,_Z9SoAKernelILi4096EEvPK13ApplesOnTreesPi,comdat
.Lfunc_end1:
	.size	_Z9SoAKernelILi4096EEvPK13ApplesOnTreesPi, .Lfunc_end1-_Z9SoAKernelILi4096EEvPK13ApplesOnTreesPi
                                        ; -- End function
	.section	.AMDGPU.csdata,"",@progbits
; Kernel info:
; codeLenInByte = 664
; NumSgprs: 18
; NumVgprs: 33
; ScratchSize: 0
; MemoryBound: 0
; FloatMode: 240
; IeeeMode: 1
; LDSByteSize: 0 bytes/workgroup (compile time only)
; SGPRBlocks: 2
; VGPRBlocks: 4
; NumSGPRsForWavesPerEU: 18
; NumVGPRsForWavesPerEU: 33
; Occupancy: 16
; WaveLimiterHint : 1
; COMPUTE_PGM_RSRC2:SCRATCH_EN: 0
; COMPUTE_PGM_RSRC2:USER_SGPR: 15
; COMPUTE_PGM_RSRC2:TRAP_HANDLER: 0
; COMPUTE_PGM_RSRC2:TGID_X_EN: 1
; COMPUTE_PGM_RSRC2:TGID_Y_EN: 0
; COMPUTE_PGM_RSRC2:TGID_Z_EN: 0
; COMPUTE_PGM_RSRC2:TIDIG_COMP_CNT: 0
	.text
	.p2alignl 7, 3214868480
	.fill 96, 4, 3214868480
	.type	__hip_cuid_4d5c6423f4474b8,@object ; @__hip_cuid_4d5c6423f4474b8
	.section	.bss,"aw",@nobits
	.globl	__hip_cuid_4d5c6423f4474b8
__hip_cuid_4d5c6423f4474b8:
	.byte	0                               ; 0x0
	.size	__hip_cuid_4d5c6423f4474b8, 1

	.ident	"AMD clang version 19.0.0git (https://github.com/RadeonOpenCompute/llvm-project roc-6.4.0 25133 c7fe45cf4b819c5991fe208aaa96edf142730f1d)"
	.section	".note.GNU-stack","",@progbits
	.addrsig
	.addrsig_sym __hip_cuid_4d5c6423f4474b8
	.amdgpu_metadata
---
amdhsa.kernels:
  - .args:
      - .actual_access:  read_only
        .address_space:  global
        .offset:         0
        .size:           8
        .value_kind:     global_buffer
      - .actual_access:  write_only
        .address_space:  global
        .offset:         8
        .size:           8
        .value_kind:     global_buffer
      - .offset:         16
        .size:           4
        .value_kind:     hidden_block_count_x
      - .offset:         20
        .size:           4
        .value_kind:     hidden_block_count_y
      - .offset:         24
        .size:           4
        .value_kind:     hidden_block_count_z
      - .offset:         28
        .size:           2
        .value_kind:     hidden_group_size_x
      - .offset:         30
        .size:           2
        .value_kind:     hidden_group_size_y
      - .offset:         32
        .size:           2
        .value_kind:     hidden_group_size_z
      - .offset:         34
        .size:           2
        .value_kind:     hidden_remainder_x
      - .offset:         36
        .size:           2
        .value_kind:     hidden_remainder_y
      - .offset:         38
        .size:           2
        .value_kind:     hidden_remainder_z
      - .offset:         56
        .size:           8
        .value_kind:     hidden_global_offset_x
      - .offset:         64
        .size:           8
        .value_kind:     hidden_global_offset_y
      - .offset:         72
        .size:           8
        .value_kind:     hidden_global_offset_z
      - .offset:         80
        .size:           2
        .value_kind:     hidden_grid_dims
    .group_segment_fixed_size: 0
    .kernarg_segment_align: 8
    .kernarg_segment_size: 272
    .language:       OpenCL C
    .language_version:
      - 2
      - 0
    .max_flat_workgroup_size: 1024
    .name:           _Z9AoSKernelILi4096EEvPK9AppleTreePi
    .private_segment_fixed_size: 0
    .sgpr_count:     18
    .sgpr_spill_count: 0
    .symbol:         _Z9AoSKernelILi4096EEvPK9AppleTreePi.kd
    .uniform_work_group_size: 1
    .uses_dynamic_stack: false
    .vgpr_count:     21
    .vgpr_spill_count: 0
    .wavefront_size: 32
    .workgroup_processor_mode: 1
  - .args:
      - .actual_access:  read_only
        .address_space:  global
        .offset:         0
        .size:           8
        .value_kind:     global_buffer
      - .actual_access:  write_only
        .address_space:  global
        .offset:         8
        .size:           8
        .value_kind:     global_buffer
      - .offset:         16
        .size:           4
        .value_kind:     hidden_block_count_x
      - .offset:         20
        .size:           4
        .value_kind:     hidden_block_count_y
      - .offset:         24
        .size:           4
        .value_kind:     hidden_block_count_z
      - .offset:         28
        .size:           2
        .value_kind:     hidden_group_size_x
      - .offset:         30
        .size:           2
        .value_kind:     hidden_group_size_y
      - .offset:         32
        .size:           2
        .value_kind:     hidden_group_size_z
      - .offset:         34
        .size:           2
        .value_kind:     hidden_remainder_x
      - .offset:         36
        .size:           2
        .value_kind:     hidden_remainder_y
      - .offset:         38
        .size:           2
        .value_kind:     hidden_remainder_z
      - .offset:         56
        .size:           8
        .value_kind:     hidden_global_offset_x
      - .offset:         64
        .size:           8
        .value_kind:     hidden_global_offset_y
      - .offset:         72
        .size:           8
        .value_kind:     hidden_global_offset_z
      - .offset:         80
        .size:           2
        .value_kind:     hidden_grid_dims
    .group_segment_fixed_size: 0
    .kernarg_segment_align: 8
    .kernarg_segment_size: 272
    .language:       OpenCL C
    .language_version:
      - 2
      - 0
    .max_flat_workgroup_size: 1024
    .name:           _Z9SoAKernelILi4096EEvPK13ApplesOnTreesPi
    .private_segment_fixed_size: 0
    .sgpr_count:     18
    .sgpr_spill_count: 0
    .symbol:         _Z9SoAKernelILi4096EEvPK13ApplesOnTreesPi.kd
    .uniform_work_group_size: 1
    .uses_dynamic_stack: false
    .vgpr_count:     33
    .vgpr_spill_count: 0
    .wavefront_size: 32
    .workgroup_processor_mode: 1
amdhsa.target:   amdgcn-amd-amdhsa--gfx1100
amdhsa.version:
  - 1
  - 2
...

	.end_amdgpu_metadata
